;; amdgpu-corpus repo=ROCm/rocFFT kind=compiled arch=gfx950 opt=O3
	.text
	.amdgcn_target "amdgcn-amd-amdhsa--gfx950"
	.amdhsa_code_object_version 6
	.protected	bluestein_single_fwd_len84_dim1_sp_op_CI_CI ; -- Begin function bluestein_single_fwd_len84_dim1_sp_op_CI_CI
	.globl	bluestein_single_fwd_len84_dim1_sp_op_CI_CI
	.p2align	8
	.type	bluestein_single_fwd_len84_dim1_sp_op_CI_CI,@function
bluestein_single_fwd_len84_dim1_sp_op_CI_CI: ; @bluestein_single_fwd_len84_dim1_sp_op_CI_CI
; %bb.0:
	s_load_dwordx4 s[16:19], s[0:1], 0x28
	v_mul_u32_u24_e32 v1, 0x1556, v0
	v_lshrrev_b32_e32 v2, 16, v1
	v_mad_u64_u32 v[40:41], s[2:3], s2, 10, v[2:3]
	v_mov_b32_e32 v59, 0
	v_mov_b32_e32 v41, v59
	s_waitcnt lgkmcnt(0)
	v_cmp_gt_u64_e32 vcc, s[16:17], v[40:41]
	s_and_saveexec_b64 s[2:3], vcc
	s_cbranch_execz .LBB0_18
; %bb.1:
	s_load_dwordx4 s[4:7], s[0:1], 0x18
	s_load_dwordx4 s[8:11], s[0:1], 0x0
	v_mul_lo_u16_e32 v1, 12, v2
	v_sub_u16_e32 v48, v0, v1
	v_or_b32_e32 v41, 48, v48
	s_waitcnt lgkmcnt(0)
	s_load_dwordx4 s[12:15], s[4:5], 0x0
	v_mov_b32_e32 v4, s18
	v_mov_b32_e32 v5, s19
	;; [unrolled: 1-line block ×3, first 2 shown]
	v_lshlrev_b32_e32 v58, 3, v48
	s_waitcnt lgkmcnt(0)
	v_mad_u64_u32 v[0:1], s[2:3], s14, v40, 0
	v_mov_b32_e32 v2, v1
	v_mad_u64_u32 v[2:3], s[2:3], s15, v40, v[2:3]
	v_mov_b32_e32 v1, v2
	;; [unrolled: 2-line block ×4, first 2 shown]
	v_mad_u64_u32 v[6:7], s[2:3], s12, v41, 0
	v_lshl_add_u64 v[0:1], v[0:1], 3, v[4:5]
	v_mov_b32_e32 v8, v7
	v_lshl_add_u64 v[2:3], v[2:3], 3, v[0:1]
	v_mad_u64_u32 v[8:9], s[2:3], s13, v41, v[8:9]
	v_mad_u64_u32 v[4:5], s[2:3], s12, v14, v[2:3]
	s_mul_i32 s4, s13, 0x60
	v_mov_b32_e32 v7, v8
	v_lshl_add_u64 v[0:1], v[6:7], 3, v[0:1]
	v_add_u32_e32 v5, s4, v5
	global_load_dwordx2 v[50:51], v58, s[8:9]
	global_load_dwordx2 v[6:7], v[2:3], off
	global_load_dwordx2 v[8:9], v[0:1], off
	global_load_dwordx2 v[44:45], v58, s[8:9] offset:384
	v_mad_u64_u32 v[0:1], s[2:3], s12, v14, v[4:5]
	v_add_u32_e32 v1, s4, v1
	global_load_dwordx2 v[56:57], v58, s[8:9] offset:96
	global_load_dwordx2 v[2:3], v[4:5], off
	global_load_dwordx2 v[10:11], v[0:1], off
	v_mad_u64_u32 v[0:1], s[2:3], s12, v14, v[0:1]
	v_add_u32_e32 v1, s4, v1
	v_mov_b32_e32 v12, 0xc0
	global_load_dwordx2 v[54:55], v58, s[8:9] offset:192
	global_load_dwordx2 v[52:53], v58, s[8:9] offset:288
	global_load_dwordx2 v[4:5], v[0:1], off
	v_mad_u64_u32 v[0:1], s[2:3], s12, v12, v[0:1]
	s_mul_i32 s2, s13, 0xc0
	s_nop 0
	v_add_u32_e32 v1, s2, v1
	global_load_dwordx2 v[12:13], v[0:1], off
	global_load_dwordx2 v[46:47], v58, s[8:9] offset:480
	v_mad_u64_u32 v[0:1], s[2:3], s12, v14, v[0:1]
	v_add_u32_e32 v1, s4, v1
	global_load_dwordx2 v[42:43], v58, s[8:9] offset:576
	global_load_dwordx2 v[14:15], v[0:1], off
	s_load_dwordx2 s[12:13], s[0:1], 0x38
	s_mov_b32 s0, 0xcccccccd
	v_mul_hi_u32 v0, v40, s0
	v_lshrrev_b32_e32 v0, 3, v0
	v_mul_lo_u32 v0, v0, 10
	v_sub_u32_e32 v0, v40, v0
	v_mul_u32_u24_e32 v0, 0x54, v0
	v_lshlrev_b32_e32 v83, 3, v0
	v_add_u32_e32 v82, v58, v83
	s_load_dwordx4 s[4:7], s[6:7], 0x0
	s_mov_b32 s16, 0x3d64c772
	s_mov_b32 s20, 0x3eae86e6
	;; [unrolled: 1-line block ×11, first 2 shown]
	v_mov_b32_e32 v49, v59
	s_waitcnt vmcnt(12)
	v_mul_f32_e32 v0, v7, v51
	v_mul_f32_e32 v1, v6, v51
	v_fmac_f32_e32 v0, v6, v50
	v_fma_f32 v1, v7, v50, -v1
	s_waitcnt vmcnt(10)
	v_mul_f32_e32 v16, v9, v45
	s_waitcnt vmcnt(8)
	v_mul_f32_e32 v6, v3, v57
	v_mul_f32_e32 v7, v2, v57
	v_fmac_f32_e32 v6, v2, v56
	v_fma_f32 v7, v3, v56, -v7
	ds_write2_b64 v82, v[0:1], v[6:7] offset1:12
	s_waitcnt vmcnt(6)
	v_mul_f32_e32 v0, v11, v55
	v_mul_f32_e32 v1, v10, v55
	s_waitcnt vmcnt(4)
	v_mul_f32_e32 v2, v5, v53
	v_mul_f32_e32 v3, v4, v53
	v_fmac_f32_e32 v0, v10, v54
	v_fma_f32 v1, v11, v54, -v1
	v_fmac_f32_e32 v2, v4, v52
	v_fma_f32 v3, v5, v52, -v3
	v_mul_f32_e32 v17, v8, v45
	ds_write2_b64 v82, v[0:1], v[2:3] offset0:24 offset1:36
	s_waitcnt vmcnt(2)
	v_mul_f32_e32 v0, v13, v47
	v_mul_f32_e32 v1, v12, v47
	v_fmac_f32_e32 v16, v8, v44
	v_fma_f32 v17, v9, v44, -v17
	v_fmac_f32_e32 v0, v12, v46
	v_fma_f32 v1, v13, v46, -v1
	ds_write2_b64 v82, v[16:17], v[0:1] offset0:48 offset1:60
	s_waitcnt vmcnt(0)
	v_mul_f32_e32 v0, v15, v43
	v_mul_f32_e32 v1, v14, v43
	v_fmac_f32_e32 v0, v14, v42
	v_fma_f32 v1, v15, v42, -v1
	ds_write_b64 v82, v[0:1] offset:576
	s_waitcnt lgkmcnt(0)
	s_barrier
	ds_read2_b64 v[0:3], v82 offset1:12
	ds_read_b64 v[12:13], v82 offset:576
	ds_read2_b64 v[4:7], v82 offset0:24 offset1:36
	ds_read2_b64 v[8:11], v82 offset0:48 offset1:60
	v_mul_lo_u16_e32 v14, 7, v48
	v_lshl_add_u32 v80, v14, 3, v83
	s_waitcnt lgkmcnt(2)
	v_pk_add_f32 v[14:15], v[2:3], v[12:13]
	v_pk_add_f32 v[2:3], v[2:3], v[12:13] neg_lo:[0,1] neg_hi:[0,1]
	s_waitcnt lgkmcnt(0)
	v_pk_add_f32 v[12:13], v[4:5], v[10:11]
	v_pk_add_f32 v[18:19], v[6:7], v[8:9]
	v_pk_add_f32 v[4:5], v[4:5], v[10:11] neg_lo:[0,1] neg_hi:[0,1]
	v_pk_add_f32 v[10:11], v[12:13], v[14:15] neg_lo:[0,1] neg_hi:[0,1]
	v_pk_add_f32 v[20:21], v[12:13], v[14:15]
	v_mov_b32_e32 v22, v18
	v_mov_b32_e32 v23, v15
	;; [unrolled: 1-line block ×6, first 2 shown]
	v_pk_add_f32 v[6:7], v[8:9], v[6:7] neg_lo:[0,1] neg_hi:[0,1]
	v_pk_add_f32 v[22:23], v[22:23], v[24:25] neg_lo:[0,1] neg_hi:[0,1]
	;; [unrolled: 1-line block ×3, first 2 shown]
	v_mov_b32_e32 v14, v7
	v_mov_b32_e32 v15, v2
	;; [unrolled: 1-line block ×4, first 2 shown]
	v_pk_add_f32 v[8:9], v[6:7], v[4:5]
	v_pk_add_f32 v[14:15], v[14:15], v[24:25] neg_lo:[0,1] neg_hi:[0,1]
	v_mov_b32_e32 v24, v3
	v_mov_b32_e32 v6, v7
	;; [unrolled: 1-line block ×3, first 2 shown]
	v_pk_add_f32 v[16:17], v[4:5], v[2:3] neg_lo:[0,1] neg_hi:[0,1]
	v_pk_add_f32 v[4:5], v[24:25], v[6:7] neg_lo:[0,1] neg_hi:[0,1]
	v_pk_add_f32 v[6:7], v[18:19], v[20:21]
	v_pk_mul_f32 v[18:19], v[22:23], s[16:17]
	v_pk_mul_f32 v[20:21], v[12:13], s[18:19]
	;; [unrolled: 1-line block ×4, first 2 shown]
	v_pk_add_f32 v[2:3], v[8:9], v[2:3]
	v_pk_add_f32 v[8:9], v[0:1], v[6:7]
	s_mov_b32 s16, 0x3ee1c552
	v_mov_b32_e32 v24, v20
	v_mov_b32_e32 v25, v19
	;; [unrolled: 1-line block ×4, first 2 shown]
	v_pk_mul_f32 v[0:1], v[2:3], s[16:17] op_sel_hi:[1,0]
	v_pk_fma_f32 v[6:7], v[6:7], s[14:15], v[8:9] op_sel_hi:[1,0,1]
	v_pk_fma_f32 v[12:13], v[12:13], s[18:19], v[18:19]
	v_pk_fma_f32 v[24:25], v[10:11], s[0:1], v[24:25] op_sel_hi:[1,0,1] neg_lo:[1,0,1] neg_hi:[1,0,1]
	v_pk_fma_f32 v[4:5], v[4:5], s[20:21], v[14:15]
	v_pk_fma_f32 v[26:27], v[16:17], s[2:3], v[26:27] op_sel_hi:[1,0,1] neg_lo:[1,0,1] neg_hi:[1,0,1]
	v_pk_add_f32 v[12:13], v[12:13], v[6:7]
	v_pk_add_f32 v[24:25], v[24:25], v[6:7]
	v_pk_add_f32 v[4:5], v[0:1], v[4:5] op_sel:[1,0] op_sel_hi:[0,1]
	v_pk_fma_f32 v[0:1], v[2:3], s[16:17], v[26:27] op_sel_hi:[1,0,1]
	v_pk_add_f32 v[28:29], v[12:13], v[4:5]
	v_pk_add_f32 v[26:27], v[24:25], v[0:1] op_sel:[0,1] op_sel_hi:[1,0]
	v_pk_add_f32 v[24:25], v[24:25], v[0:1] op_sel:[0,1] op_sel_hi:[1,0] neg_lo:[0,1] neg_hi:[0,1]
	v_pk_add_f32 v[0:1], v[12:13], v[4:5] neg_lo:[0,1] neg_hi:[0,1]
	v_mov_b32_e32 v4, v28
	v_mov_b32_e32 v5, v1
	s_barrier
	ds_write2_b64 v80, v[8:9], v[4:5] offset1:1
	v_mov_b32_e32 v19, v21
	v_mov_b32_e32 v8, v23
	;; [unrolled: 1-line block ×3, first 2 shown]
	v_pk_fma_f32 v[4:5], v[10:11], s[0:1], v[18:19] op_sel_hi:[1,0,1] neg_lo:[0,0,1] neg_hi:[0,0,1]
	v_pk_fma_f32 v[8:9], v[16:17], s[2:3], v[8:9] op_sel_hi:[1,0,1] neg_lo:[0,0,1] neg_hi:[0,0,1]
	v_pk_add_f32 v[4:5], v[4:5], v[6:7]
	v_pk_fma_f32 v[2:3], v[2:3], s[16:17], v[8:9] op_sel_hi:[1,0,1]
	v_mov_b32_e32 v1, v29
	v_pk_add_f32 v[6:7], v[4:5], v[2:3] op_sel:[0,1] op_sel_hi:[1,0] neg_lo:[0,1] neg_hi:[0,1]
	v_pk_add_f32 v[2:3], v[4:5], v[2:3] op_sel:[0,1] op_sel_hi:[1,0]
	v_mov_b32_e32 v4, v26
	v_mov_b32_e32 v5, v25
	;; [unrolled: 1-line block ×6, first 2 shown]
	ds_write2_b64 v80, v[4:5], v[8:9] offset0:2 offset1:3
	ds_write2_b64 v80, v[2:3], v[24:25] offset0:4 offset1:5
	ds_write_b64 v80, v[0:1] offset:48
	s_waitcnt lgkmcnt(0)
	s_barrier
	ds_read2_b64 v[4:7], v82 offset1:12
	ds_read2_b64 v[8:11], v82 offset0:24 offset1:42
	ds_read2_b64 v[12:15], v82 offset0:54 offset1:66
	v_cmp_gt_u16_e64 s[0:1], 6, v48
                                        ; implicit-def: $vgpr16
	s_and_saveexec_b64 s[2:3], s[0:1]
	s_cbranch_execz .LBB0_3
; %bb.2:
	ds_read2_b64 v[0:3], v82 offset0:36 offset1:78
	s_waitcnt lgkmcnt(0)
	v_mov_b32_e32 v16, v3
.LBB0_3:
	s_or_b64 exec, exec, s[2:3]
	v_mov_b32_e32 v3, 37
	v_add_u16_e32 v24, 24, v48
	v_mul_lo_u16_sdwa v25, v24, v3 dst_sel:DWORD dst_unused:UNUSED_PAD src0_sel:BYTE_0 src1_sel:DWORD
	v_sub_u16_sdwa v26, v24, v25 dst_sel:DWORD dst_unused:UNUSED_PAD src0_sel:DWORD src1_sel:BYTE_1
	v_lshrrev_b16_e32 v26, 1, v26
	v_and_b32_e32 v26, 0x7f, v26
	v_add_u16_sdwa v25, v26, v25 dst_sel:DWORD dst_unused:UNUSED_PAD src0_sel:DWORD src1_sel:BYTE_1
	v_lshrrev_b16_e32 v25, 2, v25
	v_mul_lo_u16_e32 v26, 7, v25
	v_lshl_add_u64 v[70:71], v[48:49], 0, 12
	v_lshl_add_u64 v[18:19], v[48:49], 0, -7
	v_cmp_gt_u16_e32 vcc, 7, v48
	v_sub_u16_e32 v24, v24, v26
	v_add_u16_e32 v26, 36, v48
	v_cndmask_b32_e64 v19, v19, 0, vcc
	v_cndmask_b32_e32 v18, v18, v48, vcc
	v_mul_lo_u16_sdwa v17, v70, v3 dst_sel:DWORD dst_unused:UNUSED_PAD src0_sel:BYTE_0 src1_sel:DWORD
	v_mul_lo_u16_sdwa v3, v26, v3 dst_sel:DWORD dst_unused:UNUSED_PAD src0_sel:BYTE_0 src1_sel:DWORD
	v_lshl_add_u64 v[20:21], v[18:19], 3, s[10:11]
	v_sub_u16_sdwa v19, v70, v17 dst_sel:DWORD dst_unused:UNUSED_PAD src0_sel:DWORD src1_sel:BYTE_1
	v_sub_u16_sdwa v27, v26, v3 dst_sel:DWORD dst_unused:UNUSED_PAD src0_sel:DWORD src1_sel:BYTE_1
	v_lshrrev_b16_e32 v19, 1, v19
	v_lshrrev_b16_e32 v27, 1, v27
	v_and_b32_e32 v19, 0x7f, v19
	v_and_b32_e32 v27, 0x7f, v27
	v_add_u16_sdwa v17, v19, v17 dst_sel:DWORD dst_unused:UNUSED_PAD src0_sel:DWORD src1_sel:BYTE_1
	global_load_dwordx2 v[60:61], v[20:21], off
	v_add_u16_sdwa v3, v27, v3 dst_sel:DWORD dst_unused:UNUSED_PAD src0_sel:DWORD src1_sel:BYTE_1
	v_lshrrev_b16_e32 v17, 2, v17
	v_lshrrev_b16_e32 v3, 2, v3
	v_mul_lo_u16_e32 v19, 7, v17
	v_mul_lo_u16_e32 v3, 7, v3
	v_sub_u16_e32 v19, v70, v19
	v_mov_b32_e32 v22, 3
	v_sub_u16_e32 v49, v26, v3
	v_lshlrev_b32_sdwa v23, v22, v19 dst_sel:DWORD dst_unused:UNUSED_PAD src0_sel:DWORD src1_sel:BYTE_0
	v_and_b32_e32 v3, 0xff, v49
	v_lshlrev_b32_sdwa v22, v22, v24 dst_sel:DWORD dst_unused:UNUSED_PAD src0_sel:DWORD src1_sel:BYTE_0
	v_lshlrev_b32_e32 v20, 3, v3
	global_load_dwordx2 v[66:67], v23, s[10:11]
	global_load_dwordx2 v[64:65], v22, s[10:11]
	global_load_dwordx2 v[62:63], v20, s[10:11]
	v_cmp_lt_u16_e32 vcc, 6, v48
	v_mad_legacy_u16 v17, v17, 14, v19
	v_and_b32_e32 v17, 0xff, v17
	v_cndmask_b32_e64 v20, 0, 14, vcc
	v_add_u32_e32 v18, v18, v20
	v_lshl_add_u32 v84, v18, 3, v83
	v_mad_legacy_u16 v18, v25, 14, v24
	v_and_b32_e32 v18, 0xff, v18
	v_lshl_add_u32 v85, v18, 3, v83
	s_waitcnt lgkmcnt(0)
	s_barrier
	v_lshl_add_u32 v87, v17, 3, v83
	s_waitcnt vmcnt(3)
	v_pk_mul_f32 v[18:19], v[10:11], v[60:61] op_sel:[0,1]
	s_nop 0
	v_pk_fma_f32 v[20:21], v[10:11], v[60:61], v[18:19] op_sel:[0,0,1] op_sel_hi:[1,1,0] neg_lo:[0,0,1] neg_hi:[0,0,1]
	v_pk_fma_f32 v[10:11], v[10:11], v[60:61], v[18:19] op_sel:[0,0,1] op_sel_hi:[1,0,0]
	s_waitcnt vmcnt(0)
	v_pk_mul_f32 v[16:17], v[16:17], v[62:63] op_sel_hi:[0,1]
	v_mov_b32_e32 v21, v11
	v_pk_add_f32 v[10:11], v[4:5], v[20:21] neg_lo:[0,1] neg_hi:[0,1]
	s_nop 0
	v_pk_fma_f32 v[4:5], v[4:5], 2.0, v[10:11] op_sel_hi:[1,0,1] neg_lo:[0,0,1] neg_hi:[0,0,1]
	ds_write2_b64 v84, v[4:5], v[10:11] offset1:7
	v_pk_mul_f32 v[4:5], v[12:13], v[66:67] op_sel:[0,1]
	v_pk_mul_f32 v[10:11], v[14:15], v[64:65] op_sel:[0,1]
	v_pk_fma_f32 v[18:19], v[12:13], v[66:67], v[4:5] op_sel:[0,0,1] op_sel_hi:[1,1,0] neg_lo:[0,0,1] neg_hi:[0,0,1]
	v_pk_fma_f32 v[4:5], v[12:13], v[66:67], v[4:5] op_sel:[0,0,1] op_sel_hi:[1,0,0]
	v_pk_fma_f32 v[12:13], v[14:15], v[64:65], v[10:11] op_sel:[0,0,1] op_sel_hi:[1,1,0] neg_lo:[0,0,1] neg_hi:[0,0,1]
	v_pk_fma_f32 v[10:11], v[14:15], v[64:65], v[10:11] op_sel:[0,0,1] op_sel_hi:[1,0,0]
	v_pk_fma_f32 v[14:15], v[2:3], v[62:63], v[16:17] op_sel:[0,0,1] op_sel_hi:[1,1,0] neg_lo:[0,0,1] neg_hi:[0,0,1]
	v_pk_fma_f32 v[16:17], v[2:3], v[62:63], v[16:17] op_sel:[0,0,1] op_sel_hi:[0,1,0]
	v_mov_b32_e32 v19, v5
	v_mov_b32_e32 v15, v17
	v_mov_b32_e32 v13, v11
	v_pk_add_f32 v[4:5], v[6:7], v[18:19] neg_lo:[0,1] neg_hi:[0,1]
	v_pk_add_f32 v[18:19], v[0:1], v[14:15] neg_lo:[0,1] neg_hi:[0,1]
	;; [unrolled: 1-line block ×3, first 2 shown]
	v_pk_fma_f32 v[6:7], v[6:7], 2.0, v[4:5] op_sel_hi:[1,0,1] neg_lo:[0,0,1] neg_hi:[0,0,1]
	v_pk_fma_f32 v[16:17], v[0:1], 2.0, v[18:19] op_sel_hi:[1,0,1] neg_lo:[0,0,1] neg_hi:[0,0,1]
	;; [unrolled: 1-line block ×3, first 2 shown]
	ds_write2_b64 v87, v[6:7], v[4:5] offset1:7
	ds_write2_b64 v85, v[8:9], v[10:11] offset1:7
	s_and_saveexec_b64 s[2:3], s[0:1]
	s_cbranch_execz .LBB0_5
; %bb.4:
	v_lshl_add_u32 v0, v3, 3, v83
	ds_write2_b64 v0, v[16:17], v[18:19] offset0:70 offset1:77
.LBB0_5:
	s_or_b64 exec, exec, s[2:3]
	s_waitcnt lgkmcnt(0)
	s_barrier
	ds_read2_b64 v[20:23], v82 offset1:14
	ds_read2_b64 v[36:39], v82 offset0:28 offset1:42
	ds_read2_b64 v[32:35], v82 offset0:56 offset1:70
	v_cmp_lt_u16_e64 s[2:3], 1, v48
	v_cmp_gt_u16_e32 vcc, 2, v48
                                        ; implicit-def: $vgpr24
                                        ; implicit-def: $vgpr76
                                        ; implicit-def: $vgpr72
                                        ; implicit-def: $vgpr28
                                        ; implicit-def: $vgpr78
                                        ; implicit-def: $vgpr74
	s_and_saveexec_b64 s[14:15], vcc
	s_cbranch_execz .LBB0_7
; %bb.6:
	ds_read2_b64 v[24:27], v82 offset0:40 offset1:54
	ds_read2_b64 v[28:31], v82 offset0:68 offset1:82
	;; [unrolled: 1-line block ×3, first 2 shown]
	s_waitcnt lgkmcnt(2)
	v_mov_b32_e32 v76, v25
	v_mov_b32_e32 v72, v27
	s_waitcnt lgkmcnt(1)
	v_mov_b32_e32 v78, v29
	v_mov_b32_e32 v74, v31
.LBB0_7:
	s_or_b64 exec, exec, s[14:15]
	v_mad_u64_u32 v[0:1], s[14:15], v48, 40, s[10:11]
	global_load_dwordx4 v[8:11], v[0:1], off offset:56
	global_load_dwordx4 v[4:7], v[0:1], off offset:72
	global_load_dwordx2 v[68:69], v[0:1], off offset:88
	v_add_u32_e32 v0, -2, v48
	v_cndmask_b32_e32 v0, v0, v70, vcc
	v_mul_hi_i32_i24_e32 v1, 40, v0
	v_mul_i32_i24_e32 v0, 40, v0
	v_lshl_add_u64 v[88:89], s[10:11], 0, v[0:1]
	global_load_dwordx4 v[0:3], v[88:89], off offset:56
	global_load_dwordx4 v[12:15], v[88:89], off offset:72
	global_load_dwordx2 v[70:71], v[88:89], off offset:88
	s_mov_b32 s10, 0x3f5db3d7
	s_mov_b32 s11, 0xbf5db3d7
	s_waitcnt vmcnt(5)
	v_mov_b32_e32 v86, v11
	s_waitcnt vmcnt(4) lgkmcnt(1)
	v_pk_mul_f32 v[88:89], v[38:39], v[4:5] op_sel:[0,1]
	v_mov_b32_e32 v90, v7
	s_waitcnt vmcnt(3) lgkmcnt(0)
	v_pk_mul_f32 v[92:93], v[34:35], v[68:69] op_sel:[0,1]
	v_pk_mul_f32 v[94:95], v[22:23], v[8:9] op_sel:[0,1]
	v_pk_mul_f32 v[96:97], v[36:37], v[86:87] op_sel_hi:[1,0]
	v_pk_fma_f32 v[98:99], v[38:39], v[4:5], v[88:89] op_sel:[0,0,1] op_sel_hi:[1,1,0] neg_lo:[0,0,1] neg_hi:[0,0,1]
	v_pk_fma_f32 v[38:39], v[38:39], v[4:5], v[88:89] op_sel:[0,0,1] op_sel_hi:[1,0,0]
	v_pk_mul_f32 v[88:89], v[32:33], v[90:91] op_sel_hi:[1,0]
	v_pk_fma_f32 v[90:91], v[34:35], v[68:69], v[92:93] op_sel:[0,0,1] op_sel_hi:[1,1,0] neg_lo:[0,0,1] neg_hi:[0,0,1]
	v_pk_fma_f32 v[34:35], v[34:35], v[68:69], v[92:93] op_sel:[0,0,1] op_sel_hi:[1,0,0]
	v_pk_fma_f32 v[92:93], v[22:23], v[8:9], v[94:95] op_sel:[0,0,1] op_sel_hi:[1,1,0] neg_lo:[0,0,1] neg_hi:[0,0,1]
	v_pk_fma_f32 v[22:23], v[22:23], v[8:9], v[94:95] op_sel:[0,0,1] op_sel_hi:[1,0,0]
	;; [unrolled: 2-line block ×4, first 2 shown]
	v_mov_b32_e32 v93, v23
	v_mov_b32_e32 v91, v35
	s_waitcnt vmcnt(2)
	v_pk_mul_f32 v[22:23], v[76:77], v[2:3] op_sel_hi:[0,1]
	s_waitcnt vmcnt(1)
	v_pk_mul_f32 v[26:27], v[26:27], v[12:13] op_sel_hi:[0,1]
	v_pk_mul_f32 v[34:35], v[78:79], v[14:15] op_sel_hi:[0,1]
	s_waitcnt vmcnt(0)
	v_pk_mul_f32 v[30:31], v[30:31], v[70:71] op_sel_hi:[0,1]
	v_mov_b32_e32 v99, v39
	v_mov_b32_e32 v95, v37
	;; [unrolled: 1-line block ×3, first 2 shown]
	v_pk_mul_f32 v[32:33], v[18:19], v[0:1] op_sel_hi:[0,1]
	v_pk_fma_f32 v[38:39], v[24:25], v[2:3], v[22:23] op_sel:[0,0,1] op_sel_hi:[1,1,0] neg_lo:[0,0,1] neg_hi:[0,0,1]
	v_pk_fma_f32 v[22:23], v[24:25], v[2:3], v[22:23] op_sel:[0,0,1] op_sel_hi:[0,1,0]
	v_pk_fma_f32 v[24:25], v[28:29], v[14:15], v[34:35] op_sel:[0,0,1] op_sel_hi:[1,1,0] neg_lo:[0,0,1] neg_hi:[0,0,1]
	v_pk_fma_f32 v[28:29], v[28:29], v[14:15], v[34:35] op_sel:[0,0,1] op_sel_hi:[0,1,0]
	v_pk_fma_f32 v[34:35], v[72:73], v[12:13], v[26:27] op_sel:[0,0,1] op_sel_hi:[0,1,0]
	v_pk_fma_f32 v[26:27], v[72:73], v[12:13], v[26:27] op_sel:[0,0,1] op_sel_hi:[0,1,0] neg_lo:[1,0,0] neg_hi:[1,0,0]
	v_pk_fma_f32 v[72:73], v[74:75], v[70:71], v[30:31] op_sel:[0,0,1] op_sel_hi:[0,1,0]
	v_pk_fma_f32 v[30:31], v[74:75], v[70:71], v[30:31] op_sel:[0,0,1] op_sel_hi:[0,1,0] neg_lo:[1,0,0] neg_hi:[1,0,0]
	;; [unrolled: 2-line block ×3, first 2 shown]
	v_pk_add_f32 v[76:77], v[94:95], v[96:97]
	v_mov_b32_e32 v39, v23
	v_mov_b32_e32 v25, v29
	;; [unrolled: 1-line block ×4, first 2 shown]
	v_pk_add_f32 v[32:33], v[20:21], v[94:95]
	v_mov_b32_e32 v75, v19
	v_pk_fma_f32 v[76:77], v[76:77], 0.5, v[20:21] op_sel_hi:[1,0,1] neg_lo:[1,0,0] neg_hi:[1,0,0]
	v_pk_add_f32 v[18:19], v[38:39], v[24:25]
	v_pk_add_f32 v[20:21], v[38:39], v[24:25] neg_lo:[0,1] neg_hi:[0,1]
	v_pk_add_f32 v[26:27], v[34:35], v[72:73]
	v_pk_add_f32 v[28:29], v[34:35], v[72:73] neg_lo:[0,1] neg_hi:[0,1]
	v_pk_add_f32 v[22:23], v[16:17], v[38:39]
	v_pk_fma_f32 v[16:17], v[18:19], 0.5, v[16:17] op_sel_hi:[1,0,1] neg_lo:[1,0,0] neg_hi:[1,0,0]
	v_pk_fma_f32 v[18:19], v[26:27], 0.5, v[74:75] op_sel_hi:[1,0,1] neg_lo:[1,0,0] neg_hi:[1,0,0]
	v_pk_mul_f32 v[20:21], v[20:21], s[10:11] op_sel_hi:[1,0]
	v_pk_mul_f32 v[26:27], v[28:29], s[10:11] op_sel_hi:[1,0]
	v_pk_add_f32 v[30:31], v[22:23], v[24:25]
	v_pk_add_f32 v[22:23], v[20:21], v[16:17] op_sel:[1,0] op_sel_hi:[0,1]
	v_pk_add_f32 v[16:17], v[16:17], v[20:21] op_sel:[0,1] op_sel_hi:[1,0] neg_lo:[0,1] neg_hi:[0,1]
	v_pk_add_f32 v[20:21], v[26:27], v[18:19] op_sel:[1,0] op_sel_hi:[0,1]
	v_pk_add_f32 v[18:19], v[18:19], v[26:27] op_sel:[0,1] op_sel_hi:[1,0] neg_lo:[0,1] neg_hi:[0,1]
	v_pk_add_f32 v[36:37], v[92:93], v[98:99]
	v_mov_b32_e32 v24, v20
	v_mov_b32_e32 v25, v19
	v_mul_f32_e32 v28, 0xbf5db3d7, v21
	v_pk_add_f32 v[36:37], v[36:37], v[90:91]
	v_pk_add_f32 v[78:79], v[32:33], v[96:97]
	v_mul_f32_e32 v27, 0x3f5db3d7, v18
	v_fmac_f32_e32 v28, 0.5, v18
	v_pk_mul_f32 v[18:19], v[24:25], 0.5 op_sel_hi:[1,0]
	v_pk_add_f32 v[32:33], v[74:75], v[34:35]
	v_pk_add_f32 v[34:35], v[78:79], v[36:37]
	v_pk_fma_f32 v[18:19], v[24:25], s[10:11], v[18:19] op_sel:[0,0,1] op_sel_hi:[1,1,0] neg_lo:[0,0,1] neg_hi:[0,0,1]
	ds_write_b64 v82, v[34:35]
	v_mov_b32_e32 v34, v16
	v_mov_b32_e32 v35, v23
	;; [unrolled: 1-line block ×3, first 2 shown]
	v_pk_add_f32 v[32:33], v[32:33], v[72:73]
	v_add_f32_e32 v26, v17, v28
	v_pk_add_f32 v[72:73], v[16:17], v[28:29] op_sel:[1,0] op_sel_hi:[0,1] neg_lo:[0,1] neg_hi:[0,1]
	v_lshl_add_u64 v[28:29], s[8:9], 0, v[58:59]
	v_pk_add_f32 v[16:17], v[34:35], v[18:19]
	v_pk_add_f32 v[34:35], v[94:95], v[96:97] neg_lo:[0,1] neg_hi:[0,1]
	v_pk_add_f32 v[58:59], v[98:99], v[90:91]
	v_pk_mul_f32 v[34:35], v[34:35], s[10:11] op_sel_hi:[1,0]
	v_pk_fma_f32 v[58:59], v[58:59], 0.5, v[92:93] op_sel_hi:[1,0,1] neg_lo:[1,0,0] neg_hi:[1,0,0]
	v_pk_add_f32 v[74:75], v[98:99], v[90:91] neg_lo:[0,1] neg_hi:[0,1]
	v_fmac_f32_e32 v27, 0.5, v21
	v_pk_add_f32 v[38:39], v[34:35], v[76:77] op_sel:[1,0] op_sel_hi:[0,1]
	v_pk_add_f32 v[34:35], v[76:77], v[34:35] op_sel:[0,1] op_sel_hi:[1,0] neg_lo:[0,1] neg_hi:[0,1]
	v_pk_fma_f32 v[76:77], v[74:75], s[10:11], v[58:59] op_sel:[0,0,1] op_sel_hi:[1,0,0]
	v_pk_fma_f32 v[58:59], v[74:75], s[10:11], v[58:59] op_sel:[0,0,1] op_sel_hi:[1,0,0] neg_lo:[1,0,0] neg_hi:[1,0,0]
	v_sub_f32_e32 v20, v22, v27
	v_add_f32_e32 v24, v22, v27
	v_mov_b32_e32 v74, v76
	v_mov_b32_e32 v75, v59
	v_mul_f32_e32 v22, 0xbf5db3d7, v77
	v_mul_f32_e32 v21, 0x3f5db3d7, v58
	v_fmac_f32_e32 v22, 0.5, v58
	v_pk_mul_f32 v[58:59], v[74:75], 0.5 op_sel_hi:[1,0]
	v_fmac_f32_e32 v21, 0.5, v77
	v_pk_fma_f32 v[58:59], v[74:75], s[10:11], v[58:59] op_sel:[0,0,1] op_sel_hi:[1,1,0] neg_lo:[0,0,1] neg_hi:[0,0,1]
	v_mov_b32_e32 v77, v39
	v_mov_b32_e32 v76, v34
	v_lshl_add_u32 v86, v48, 3, v83
	v_add_f32_e32 v74, v38, v21
	v_add_f32_e32 v75, v35, v22
	v_sub_f32_e32 v39, v35, v22
	v_pk_add_f32 v[34:35], v[76:77], v[58:59]
	v_sub_f32_e32 v38, v38, v21
	ds_write2_b64 v86, v[74:75], v[34:35] offset0:14 offset1:28
	v_pk_add_f32 v[34:35], v[78:79], v[36:37] neg_lo:[0,1] neg_hi:[0,1]
	v_sub_f32_e32 v23, v23, v19
	v_pk_add_f32 v[18:19], v[30:31], v[32:33] op_sel:[0,1] op_sel_hi:[1,0] neg_lo:[0,1] neg_hi:[0,1]
	ds_write2_b64 v86, v[34:35], v[38:39] offset0:42 offset1:56
	v_pk_add_f32 v[34:35], v[76:77], v[58:59] neg_lo:[0,1] neg_hi:[0,1]
	ds_write_b64 v86, v[34:35] offset:560
	s_and_saveexec_b64 s[10:11], vcc
	s_cbranch_execz .LBB0_9
; %bb.8:
	v_mov_b32_e32 v34, v33
	v_mov_b32_e32 v35, v32
	v_pk_add_f32 v[30:31], v[30:31], v[34:35]
	v_mov_b32_e32 v25, v26
	v_mov_b32_e32 v21, v72
	;; [unrolled: 1-line block ×3, first 2 shown]
	ds_write_b64 v82, v[30:31] offset:96
	ds_write2_b64 v86, v[24:25], v[16:17] offset0:26 offset1:40
	ds_write2_b64 v86, v[18:19], v[20:21] offset0:54 offset1:68
	ds_write_b64 v86, v[22:23] offset:656
.LBB0_9:
	s_or_b64 exec, exec, s[10:11]
	s_waitcnt lgkmcnt(0)
	s_barrier
	global_load_dwordx2 v[76:77], v[28:29], off offset:672
	s_add_u32 s8, s8, 0x2a0
	s_addc_u32 s9, s9, 0
	v_lshlrev_b32_e32 v21, 3, v48
	global_load_dwordx2 v[78:79], v21, s[8:9] offset:96
	global_load_dwordx2 v[88:89], v21, s[8:9] offset:192
	;; [unrolled: 1-line block ×6, first 2 shown]
	ds_read2_b64 v[28:31], v82 offset1:12
	ds_read2_b64 v[32:35], v82 offset0:24 offset1:48
	ds_read_b64 v[98:99], v86 offset:288
	ds_read2_b64 v[36:39], v82 offset0:60 offset1:72
	v_mov_b32_e32 v58, v66
	v_mov_b32_e32 v59, v66
	s_mov_b32 s16, 0x3d64c772
	s_mov_b32 s20, 0xbeae86e6
	;; [unrolled: 1-line block ×11, first 2 shown]
	v_mov_b32_e32 v74, v60
	v_mov_b32_e32 v75, v60
	;; [unrolled: 1-line block ×3, first 2 shown]
	s_waitcnt vmcnt(4) lgkmcnt(2)
	v_mul_f32_e32 v22, v33, v89
	v_mul_f32_e32 v21, v29, v77
	;; [unrolled: 1-line block ×3, first 2 shown]
	v_fma_f32 v100, v28, v76, -v21
	v_fmac_f32_e32 v101, v29, v76
	v_mul_f32_e32 v21, v31, v79
	v_mul_f32_e32 v29, v30, v79
	;; [unrolled: 1-line block ×3, first 2 shown]
	s_waitcnt vmcnt(3) lgkmcnt(1)
	v_mul_f32_e32 v25, v99, v91
	v_mul_f32_e32 v79, v98, v91
	s_waitcnt vmcnt(2)
	v_mul_f32_e32 v27, v35, v93
	v_mul_f32_e32 v89, v34, v93
	s_waitcnt vmcnt(1) lgkmcnt(0)
	v_mul_f32_e32 v66, v37, v95
	v_mul_f32_e32 v91, v36, v95
	s_waitcnt vmcnt(0)
	v_mul_f32_e32 v81, v39, v97
	v_mul_f32_e32 v93, v38, v97
	v_fma_f32 v28, v30, v78, -v21
	v_fmac_f32_e32 v29, v31, v78
	v_fma_f32 v76, v32, v88, -v22
	v_fmac_f32_e32 v77, v33, v88
	;; [unrolled: 2-line block ×6, first 2 shown]
	ds_write2_b64 v82, v[100:101], v[28:29] offset1:12
	ds_write_b64 v86, v[78:79] offset:288
	ds_write2_b64 v82, v[76:77], v[88:89] offset0:24 offset1:48
	ds_write2_b64 v82, v[90:91], v[92:93] offset0:60 offset1:72
	s_waitcnt lgkmcnt(0)
	s_barrier
	ds_read2_b64 v[28:31], v82 offset1:12
	ds_read2_b64 v[32:35], v82 offset0:60 offset1:72
	ds_read2_b64 v[36:39], v82 offset0:24 offset1:48
	ds_read_b64 v[76:77], v86 offset:288
	s_waitcnt lgkmcnt(0)
	s_barrier
	v_pk_add_f32 v[78:79], v[30:31], v[34:35]
	v_pk_add_f32 v[30:31], v[30:31], v[34:35] neg_lo:[0,1] neg_hi:[0,1]
	v_pk_add_f32 v[34:35], v[36:37], v[32:33]
	v_pk_add_f32 v[32:33], v[36:37], v[32:33] neg_lo:[0,1] neg_hi:[0,1]
	;; [unrolled: 2-line block ×3, first 2 shown]
	v_pk_add_f32 v[88:89], v[34:35], v[78:79] neg_lo:[0,1] neg_hi:[0,1]
	v_pk_add_f32 v[76:77], v[34:35], v[78:79]
	v_mov_b32_e32 v92, v36
	v_mov_b32_e32 v93, v79
	;; [unrolled: 1-line block ×6, first 2 shown]
	v_pk_add_f32 v[96:97], v[38:39], v[32:33]
	v_mov_b32_e32 v98, v39
	v_mov_b32_e32 v99, v30
	v_mov_b32_e32 v100, v33
	v_mov_b32_e32 v101, v38
	v_mov_b32_e32 v102, v31
	v_mov_b32_e32 v103, v38
	v_mov_b32_e32 v38, v39
	v_mov_b32_e32 v39, v32
	v_pk_add_f32 v[90:91], v[32:33], v[30:31] neg_lo:[0,1] neg_hi:[0,1]
	v_pk_add_f32 v[32:33], v[92:93], v[94:95] neg_lo:[0,1] neg_hi:[0,1]
	;; [unrolled: 1-line block ×5, first 2 shown]
	v_pk_add_f32 v[36:37], v[36:37], v[76:77]
	v_pk_add_f32 v[30:31], v[96:97], v[30:31]
	v_pk_mul_f32 v[32:33], v[32:33], s[16:17]
	v_pk_mul_f32 v[92:93], v[34:35], s[18:19]
	;; [unrolled: 1-line block ×4, first 2 shown]
	v_pk_add_f32 v[28:29], v[28:29], v[36:37]
	s_mov_b32 s16, 0xbee1c552
	v_mov_b32_e32 v78, v92
	v_mov_b32_e32 v79, v33
	;; [unrolled: 1-line block ×4, first 2 shown]
	v_pk_mul_f32 v[76:77], v[30:31], s[16:17] op_sel_hi:[1,0]
	v_pk_fma_f32 v[36:37], v[36:37], s[14:15], v[28:29] op_sel_hi:[1,0,1]
	v_pk_fma_f32 v[34:35], v[34:35], s[18:19], v[32:33]
	v_pk_fma_f32 v[78:79], v[88:89], s[8:9], v[78:79] op_sel_hi:[1,0,1] neg_lo:[1,0,1] neg_hi:[1,0,1]
	v_pk_fma_f32 v[38:39], v[38:39], s[20:21], v[96:97]
	v_pk_fma_f32 v[98:99], v[90:91], s[10:11], v[98:99] op_sel_hi:[1,0,1] neg_lo:[1,0,1] neg_hi:[1,0,1]
	v_pk_add_f32 v[34:35], v[34:35], v[36:37]
	v_pk_add_f32 v[78:79], v[78:79], v[36:37]
	v_pk_add_f32 v[38:39], v[76:77], v[38:39] op_sel:[1,0] op_sel_hi:[0,1]
	v_pk_fma_f32 v[76:77], v[30:31], s[16:17], v[98:99] op_sel_hi:[1,0,1]
	v_mov_b32_e32 v33, v93
	v_pk_add_f32 v[98:99], v[78:79], v[76:77] op_sel:[0,1] op_sel_hi:[1,0]
	v_pk_add_f32 v[100:101], v[78:79], v[76:77] op_sel:[0,1] op_sel_hi:[1,0] neg_lo:[0,1] neg_hi:[0,1]
	v_pk_add_f32 v[76:77], v[34:35], v[38:39] neg_lo:[0,1] neg_hi:[0,1]
	v_pk_add_f32 v[78:79], v[34:35], v[38:39]
	v_mov_b32_e32 v35, v77
	v_mov_b32_e32 v34, v78
	ds_write2_b64 v80, v[28:29], v[34:35] offset1:1
	v_pk_fma_f32 v[28:29], v[88:89], s[8:9], v[32:33] op_sel_hi:[1,0,1] neg_lo:[0,0,1] neg_hi:[0,0,1]
	v_mov_b32_e32 v32, v95
	v_mov_b32_e32 v33, v96
	v_pk_fma_f32 v[32:33], v[90:91], s[10:11], v[32:33] op_sel_hi:[1,0,1] neg_lo:[0,0,1] neg_hi:[0,0,1]
	v_pk_add_f32 v[28:29], v[28:29], v[36:37]
	v_pk_fma_f32 v[30:31], v[30:31], s[16:17], v[32:33] op_sel_hi:[1,0,1]
	v_mov_b32_e32 v77, v79
	v_pk_add_f32 v[32:33], v[28:29], v[30:31] op_sel:[0,1] op_sel_hi:[1,0] neg_lo:[0,1] neg_hi:[0,1]
	v_pk_add_f32 v[28:29], v[28:29], v[30:31] op_sel:[0,1] op_sel_hi:[1,0]
	v_mov_b32_e32 v30, v98
	v_mov_b32_e32 v31, v101
	;; [unrolled: 1-line block ×6, first 2 shown]
	ds_write2_b64 v80, v[30:31], v[34:35] offset0:2 offset1:3
	ds_write2_b64 v80, v[28:29], v[100:101] offset0:4 offset1:5
	ds_write_b64 v80, v[76:77] offset:48
	s_waitcnt lgkmcnt(0)
	s_barrier
	ds_read2_b64 v[36:39], v82 offset1:12
	ds_read2_b64 v[28:31], v82 offset0:24 offset1:42
	ds_read2_b64 v[32:35], v82 offset0:54 offset1:66
	v_mov_b32_e32 v66, v67
	v_mov_b32_e32 v80, v64
	;; [unrolled: 1-line block ×4, first 2 shown]
	s_and_saveexec_b64 s[8:9], s[0:1]
	s_cbranch_execz .LBB0_11
; %bb.10:
	ds_read_b64 v[24:25], v82 offset:624
	ds_read_b64 v[76:77], v86 offset:288
	s_waitcnt lgkmcnt(1)
	v_mov_b32_e32 v26, v25
	s_waitcnt lgkmcnt(0)
	v_mov_b32_e32 v79, v77
.LBB0_11:
	s_or_b64 exec, exec, s[8:9]
	s_waitcnt lgkmcnt(1)
	v_pk_mul_f32 v[60:61], v[60:61], v[30:31]
	v_pk_mul_f32 v[26:27], v[62:63], v[26:27] op_sel_hi:[1,0]
	v_mov_b32_e32 v77, v79
	v_pk_fma_f32 v[78:79], v[62:63], v[24:25], v[26:27] op_sel:[0,0,1] op_sel_hi:[1,1,0]
	v_pk_fma_f32 v[24:25], v[62:63], v[24:25], v[26:27] op_sel:[0,0,1] op_sel_hi:[1,0,0] neg_lo:[1,0,0] neg_hi:[1,0,0]
	v_pk_fma_f32 v[62:63], v[74:75], v[30:31], v[60:61] op_sel:[0,0,1] op_sel_hi:[1,1,0]
	v_pk_fma_f32 v[30:31], v[74:75], v[30:31], v[60:61] op_sel:[0,0,1] op_sel_hi:[1,1,0] neg_lo:[0,0,1] neg_hi:[0,0,1]
	s_waitcnt lgkmcnt(0)
	v_pk_mul_f32 v[66:67], v[66:67], v[32:33]
	v_mov_b32_e32 v63, v31
	v_pk_add_f32 v[30:31], v[36:37], v[62:63] neg_lo:[0,1] neg_hi:[0,1]
	s_nop 0
	v_pk_fma_f32 v[36:37], v[36:37], 2.0, v[30:31] op_sel_hi:[1,0,1] neg_lo:[0,0,1] neg_hi:[0,0,1]
	s_barrier
	ds_write2_b64 v84, v[36:37], v[30:31] offset1:7
	v_pk_fma_f32 v[30:31], v[58:59], v[32:33], v[66:67] op_sel:[0,0,1] op_sel_hi:[1,1,0]
	v_pk_fma_f32 v[32:33], v[58:59], v[32:33], v[66:67] op_sel:[0,0,1] op_sel_hi:[1,1,0] neg_lo:[0,0,1] neg_hi:[0,0,1]
	v_pk_mul_f32 v[64:65], v[64:65], v[34:35]
	v_mov_b32_e32 v31, v33
	v_pk_add_f32 v[30:31], v[38:39], v[30:31] neg_lo:[0,1] neg_hi:[0,1]
	v_mov_b32_e32 v79, v25
	v_pk_fma_f32 v[32:33], v[38:39], 2.0, v[30:31] op_sel_hi:[1,0,1] neg_lo:[0,0,1] neg_hi:[0,0,1]
	ds_write2_b64 v87, v[32:33], v[30:31] offset1:7
	v_pk_fma_f32 v[30:31], v[80:81], v[34:35], v[64:65] op_sel:[0,0,1] op_sel_hi:[1,1,0]
	v_pk_fma_f32 v[32:33], v[80:81], v[34:35], v[64:65] op_sel:[0,0,1] op_sel_hi:[1,1,0] neg_lo:[0,0,1] neg_hi:[0,0,1]
	v_pk_add_f32 v[26:27], v[76:77], v[78:79] neg_lo:[0,1] neg_hi:[0,1]
	v_mov_b32_e32 v31, v33
	v_pk_add_f32 v[30:31], v[28:29], v[30:31] neg_lo:[0,1] neg_hi:[0,1]
	v_pk_fma_f32 v[24:25], v[76:77], 2.0, v[26:27] op_sel_hi:[1,0,1] neg_lo:[0,0,1] neg_hi:[0,0,1]
	v_pk_fma_f32 v[28:29], v[28:29], 2.0, v[30:31] op_sel_hi:[1,0,1] neg_lo:[0,0,1] neg_hi:[0,0,1]
	ds_write2_b64 v85, v[28:29], v[30:31] offset1:7
	s_and_saveexec_b64 s[8:9], s[0:1]
	s_cbranch_execz .LBB0_13
; %bb.12:
	v_and_b32_e32 v21, 0xff, v49
	v_lshl_add_u32 v21, v21, 3, v83
	ds_write2_b64 v21, v[24:25], v[26:27] offset0:70 offset1:77
.LBB0_13:
	s_or_b64 exec, exec, s[8:9]
	s_waitcnt lgkmcnt(0)
	s_barrier
	ds_read2_b64 v[28:31], v82 offset1:14
	ds_read2_b64 v[36:39], v82 offset0:28 offset1:42
	ds_read2_b64 v[32:35], v82 offset0:56 offset1:70
	s_and_saveexec_b64 s[0:1], s[2:3]
	s_xor_b64 s[0:1], exec, s[0:1]
	s_or_saveexec_b64 s[0:1], s[0:1]
	v_mov_b32_e32 v66, v8
	v_mov_b32_e32 v67, v8
	;; [unrolled: 1-line block ×15, first 2 shown]
	s_xor_b64 exec, exec, s[0:1]
	s_cbranch_execz .LBB0_15
; %bb.14:
	ds_read2_b64 v[20:23], v82 offset0:68 offset1:82
	ds_read2_b64 v[24:27], v82 offset0:12 offset1:26
	ds_read2_b64 v[16:19], v82 offset0:40 offset1:54
	s_waitcnt lgkmcnt(2)
	v_mov_b32_e32 v72, v21
	v_mov_b32_e32 v73, v22
.LBB0_15:
	s_or_b64 exec, exec, s[0:1]
	s_waitcnt lgkmcnt(2)
	v_pk_mul_f32 v[8:9], v[8:9], v[30:31]
	s_waitcnt lgkmcnt(1)
	v_pk_mul_f32 v[10:11], v[10:11], v[36:37]
	v_pk_mul_f32 v[4:5], v[4:5], v[38:39]
	v_pk_fma_f32 v[74:75], v[66:67], v[30:31], v[8:9] op_sel:[0,0,1] op_sel_hi:[1,1,0]
	v_pk_fma_f32 v[8:9], v[66:67], v[30:31], v[8:9] op_sel:[0,0,1] op_sel_hi:[1,1,0] neg_lo:[0,0,1] neg_hi:[0,0,1]
	v_pk_fma_f32 v[30:31], v[64:65], v[36:37], v[10:11] op_sel:[0,0,1] op_sel_hi:[1,1,0]
	v_pk_fma_f32 v[10:11], v[64:65], v[36:37], v[10:11] op_sel:[0,0,1] op_sel_hi:[1,1,0] neg_lo:[0,0,1] neg_hi:[0,0,1]
	s_waitcnt lgkmcnt(0)
	v_pk_mul_f32 v[6:7], v[6:7], v[32:33]
	v_mov_b32_e32 v31, v11
	v_pk_fma_f32 v[10:11], v[62:63], v[38:39], v[4:5] op_sel:[0,0,1] op_sel_hi:[1,1,0]
	v_pk_fma_f32 v[4:5], v[62:63], v[38:39], v[4:5] op_sel:[0,0,1] op_sel_hi:[1,1,0] neg_lo:[0,0,1] neg_hi:[0,0,1]
	v_pk_mul_f32 v[68:69], v[68:69], v[34:35]
	v_mov_b32_e32 v11, v5
	v_pk_fma_f32 v[4:5], v[60:61], v[32:33], v[6:7] op_sel:[0,0,1] op_sel_hi:[1,1,0]
	v_pk_fma_f32 v[6:7], v[60:61], v[32:33], v[6:7] op_sel:[0,0,1] op_sel_hi:[1,1,0] neg_lo:[0,0,1] neg_hi:[0,0,1]
	v_pk_fma_f32 v[32:33], v[58:59], v[34:35], v[68:69] op_sel:[0,0,1] op_sel_hi:[1,1,0] neg_lo:[0,0,1] neg_hi:[0,0,1]
	v_mov_b32_e32 v5, v7
	v_pk_fma_f32 v[6:7], v[58:59], v[34:35], v[68:69] op_sel:[0,0,1] op_sel_hi:[1,1,0]
	v_mov_b32_e32 v75, v9
	v_mov_b32_e32 v7, v33
	v_pk_add_f32 v[32:33], v[28:29], v[30:31]
	v_pk_add_f32 v[34:35], v[10:11], v[6:7]
	v_pk_add_f32 v[36:37], v[10:11], v[6:7] neg_lo:[0,1] neg_hi:[0,1]
	v_pk_add_f32 v[10:11], v[74:75], v[10:11]
	v_pk_add_f32 v[32:33], v[32:33], v[4:5]
	s_mov_b32 s0, -0.5
	v_mov_b32_e32 v8, v74
	v_pk_add_f32 v[6:7], v[10:11], v[6:7]
	s_mov_b32 s1, 0x3f5db3d7
	v_fmac_f32_e32 v8, -0.5, v34
	v_fmac_f32_e32 v9, -0.5, v35
	v_pk_add_f32 v[34:35], v[32:33], v[6:7]
	ds_write_b64 v82, v[34:35]
	v_pk_add_f32 v[34:35], v[30:31], v[4:5]
	v_pk_add_f32 v[4:5], v[30:31], v[4:5] neg_lo:[0,1] neg_hi:[0,1]
	s_mov_b32 s8, s1
	v_pk_mul_f32 v[4:5], v[4:5], s[8:9] op_sel_hi:[1,0]
	s_mov_b32 s8, 0.5
	v_fmamk_f32 v10, v36, 0x3f5db3d7, v9
	s_mov_b32 s10, s1
	s_mov_b32 s11, s8
	v_fmamk_f32 v22, v37, 0xbf5db3d7, v8
	v_fmac_f32_e32 v9, 0xbf5db3d7, v36
	s_mov_b32 s9, s1
	v_pk_mul_f32 v[10:11], v[10:11], s[10:11] op_sel_hi:[0,1]
	v_pk_fma_f32 v[28:29], -0.5, v[34:35], v[28:29] op_sel_hi:[0,1,1]
	v_pk_fma_f32 v[34:35], v[22:23], s[8:9], v[10:11] neg_lo:[0,0,1] neg_hi:[0,0,1]
	v_pk_fma_f32 v[10:11], v[22:23], s[8:9], v[10:11] op_sel_hi:[0,1,1]
	v_mov_b32_e32 v22, v9
	v_fmac_f32_e32 v8, 0x3f5db3d7, v37
	v_pk_add_f32 v[30:31], v[28:29], v[4:5] op_sel:[0,1] op_sel_hi:[1,0] neg_lo:[0,1] neg_hi:[0,1]
	v_pk_add_f32 v[4:5], v[28:29], v[4:5] op_sel:[0,1] op_sel_hi:[1,0]
	v_pk_mul_f32 v[36:37], v[22:23], s[10:11] op_sel_hi:[0,1]
	v_mov_b32_e32 v28, v30
	v_mov_b32_e32 v29, v5
	;; [unrolled: 1-line block ×3, first 2 shown]
	v_pk_fma_f32 v[8:9], v[8:9], s[0:1], v[36:37] op_sel_hi:[0,1,1] neg_lo:[0,0,1] neg_hi:[0,0,1]
	v_mov_b32_e32 v5, v31
	v_pk_add_f32 v[10:11], v[28:29], v[34:35]
	v_pk_add_f32 v[30:31], v[4:5], v[8:9]
	s_mov_b32 s2, 0xbf5db3d7
	ds_write2_b64 v86, v[10:11], v[30:31] offset0:14 offset1:28
	v_pk_add_f32 v[6:7], v[32:33], v[6:7] neg_lo:[0,1] neg_hi:[0,1]
	v_pk_add_f32 v[10:11], v[28:29], v[34:35] neg_lo:[0,1] neg_hi:[0,1]
	;; [unrolled: 1-line block ×3, first 2 shown]
	ds_write2_b64 v86, v[6:7], v[10:11] offset0:42 offset1:56
	ds_write_b64 v86, v[4:5] offset:560
	s_and_saveexec_b64 s[8:9], vcc
	s_cbranch_execz .LBB0_17
; %bb.16:
	v_pk_mul_f32 v[4:5], v[2:3], v[16:17] op_sel:[0,1]
	v_pk_mul_f32 v[6:7], v[14:15], v[72:73] op_sel_hi:[1,0]
	v_pk_fma_f32 v[28:29], v[2:3], v[16:17], v[4:5] op_sel:[0,0,1] op_sel_hi:[1,1,0]
	v_pk_fma_f32 v[2:3], v[2:3], v[16:17], v[4:5] op_sel:[0,0,1] op_sel_hi:[1,0,0] neg_lo:[1,0,0] neg_hi:[1,0,0]
	v_pk_mul_f32 v[10:11], v[12:13], v[18:19] op_sel:[0,1]
	v_mov_b32_e32 v22, v23
	v_mov_b32_e32 v29, v3
	v_pk_fma_f32 v[2:3], v[14:15], v[20:21], v[6:7] op_sel:[0,0,1] op_sel_hi:[1,1,0]
	v_pk_fma_f32 v[4:5], v[14:15], v[20:21], v[6:7] op_sel:[0,0,1] op_sel_hi:[1,0,0] neg_lo:[1,0,0] neg_hi:[1,0,0]
	v_pk_mul_f32 v[22:23], v[70:71], v[22:23] op_sel_hi:[1,0]
	v_mov_b32_e32 v3, v5
	v_pk_fma_f32 v[16:17], v[12:13], v[18:19], v[10:11] op_sel:[0,0,1] op_sel_hi:[1,1,0]
	v_pk_fma_f32 v[10:11], v[12:13], v[18:19], v[10:11] op_sel:[0,0,1] op_sel_hi:[1,0,0] neg_lo:[1,0,0] neg_hi:[1,0,0]
	v_pk_add_f32 v[4:5], v[28:29], v[2:3]
	v_pk_add_f32 v[6:7], v[28:29], v[2:3] neg_lo:[0,1] neg_hi:[0,1]
	s_mov_b32 s10, s1
	v_mov_b32_e32 v17, v11
	v_pk_fma_f32 v[10:11], v[70:71], v[72:73], v[22:23] op_sel:[0,1,1] op_sel_hi:[1,1,0]
	v_pk_fma_f32 v[12:13], v[70:71], v[72:73], v[22:23] op_sel:[0,1,1] op_sel_hi:[1,1,0] neg_lo:[1,0,0] neg_hi:[1,0,0]
	v_pk_mul_f32 v[8:9], v[0:1], v[26:27] op_sel:[0,1]
	v_pk_fma_f32 v[4:5], -0.5, v[4:5], v[24:25] op_sel_hi:[0,1,1]
	v_pk_mul_f32 v[6:7], v[6:7], s[10:11] op_sel_hi:[1,0]
	v_mov_b32_e32 v11, v13
	v_pk_add_f32 v[14:15], v[6:7], v[4:5] op_sel:[1,0] op_sel_hi:[0,1]
	v_pk_add_f32 v[4:5], v[4:5], v[6:7] op_sel:[0,1] op_sel_hi:[1,0] neg_lo:[0,1] neg_hi:[0,1]
	v_pk_add_f32 v[12:13], v[16:17], v[10:11]
	v_pk_fma_f32 v[18:19], v[0:1], v[26:27], v[8:9] op_sel:[0,0,1] op_sel_hi:[1,0,0]
	v_pk_fma_f32 v[0:1], v[0:1], v[26:27], v[8:9] op_sel:[0,0,1] op_sel_hi:[1,0,0] neg_lo:[1,0,0] neg_hi:[1,0,0]
	v_mov_b32_e32 v7, v5
	v_mov_b32_e32 v19, v1
	;; [unrolled: 1-line block ×3, first 2 shown]
	v_pk_add_f32 v[8:9], v[16:17], v[10:11] neg_lo:[0,1] neg_hi:[0,1]
	v_fmac_f32_e32 v1, -0.5, v13
	v_fmac_f32_e32 v5, -0.5, v12
	v_fmamk_f32 v12, v8, 0xbf5db3d7, v1
	v_fmac_f32_e32 v1, 0x3f5db3d7, v8
	v_mov_b32_e32 v6, v14
	v_fmamk_f32 v0, v9, 0x3f5db3d7, v5
	v_fmac_f32_e32 v5, 0xbf5db3d7, v9
	v_mul_f32_e32 v14, 0.5, v1
	v_fmac_f32_e32 v14, 0x3f5db3d7, v5
	v_pk_add_f32 v[8:9], v[18:19], v[16:17]
	s_mov_b32 s3, s0
	v_pk_add_f32 v[16:17], v[28:29], v[24:25]
	v_mul_f32_e32 v20, 0xbf5db3d7, v1
	v_pk_add_f32 v[8:9], v[8:9], v[10:11]
	v_sub_f32_e32 v1, v15, v14
	v_pk_mul_f32 v[10:11], v[12:13], s[2:3] op_sel_hi:[0,1]
	v_pk_add_f32 v[2:3], v[2:3], v[16:17]
	v_fmac_f32_e32 v20, 0.5, v5
	v_pk_fma_f32 v[10:11], v[0:1], s[0:1], v[10:11] op_sel_hi:[0,1,1]
	v_pk_add_f32 v[16:17], v[2:3], v[8:9] neg_lo:[0,1] neg_hi:[0,1]
	v_pk_add_f32 v[2:3], v[8:9], v[2:3]
	v_sub_f32_e32 v0, v4, v20
	v_add_f32_e32 v5, v15, v14
	v_add_f32_e32 v4, v4, v20
	ds_write_b64 v82, v[2:3] offset:96
	v_pk_add_f32 v[2:3], v[6:7], v[10:11]
	v_pk_add_f32 v[12:13], v[6:7], v[10:11] neg_lo:[0,1] neg_hi:[0,1]
	ds_write2_b64 v86, v[4:5], v[2:3] offset0:26 offset1:40
	ds_write2_b64 v86, v[16:17], v[0:1] offset0:54 offset1:68
	ds_write_b64 v86, v[12:13] offset:656
.LBB0_17:
	s_or_b64 exec, exec, s[8:9]
	s_waitcnt lgkmcnt(0)
	s_barrier
	ds_read2_b64 v[0:3], v82 offset1:12
	v_mad_u64_u32 v[6:7], s[0:1], s6, v40, 0
	v_mov_b32_e32 v8, v7
	v_mad_u64_u32 v[8:9], s[0:1], s7, v40, v[8:9]
	v_mov_b32_e32 v7, v8
	s_waitcnt lgkmcnt(0)
	v_mul_f32_e32 v8, v51, v1
	v_fmac_f32_e32 v8, v50, v0
	v_mul_f32_e32 v0, v51, v0
	s_mov_b32 s0, 0x18618618
	v_fma_f32 v0, v50, v1, -v0
	v_cvt_f64_f32_e32 v[8:9], v8
	s_mov_b32 s1, 0x3f886186
	v_cvt_f64_f32_e32 v[0:1], v0
	v_mul_f64 v[8:9], v[8:9], s[0:1]
	v_mul_f64 v[0:1], v[0:1], s[0:1]
	v_cvt_f32_f64_e32 v8, v[8:9]
	v_cvt_f32_f64_e32 v9, v[0:1]
	v_mad_u64_u32 v[0:1], s[2:3], s4, v48, 0
	v_mov_b32_e32 v10, v1
	v_mov_b32_e32 v4, s12
	v_mov_b32_e32 v5, s13
	v_mad_u64_u32 v[10:11], s[2:3], s5, v48, v[10:11]
	v_mov_b32_e32 v1, v10
	v_lshl_add_u64 v[4:5], v[6:7], 3, v[4:5]
	v_lshl_add_u64 v[6:7], v[0:1], 3, v[4:5]
	v_mul_f32_e32 v0, v57, v3
	v_fmac_f32_e32 v0, v56, v2
	v_cvt_f64_f32_e32 v[0:1], v0
	v_mul_f64 v[0:1], v[0:1], s[0:1]
	global_store_dwordx2 v[6:7], v[8:9], off
	v_cvt_f32_f64_e32 v8, v[0:1]
	v_mul_f32_e32 v0, v57, v2
	v_fma_f32 v0, v56, v3, -v0
	v_cvt_f64_f32_e32 v[0:1], v0
	v_mul_f64 v[0:1], v[0:1], s[0:1]
	v_cvt_f32_f64_e32 v9, v[0:1]
	ds_read2_b64 v[0:3], v82 offset0:24 offset1:48
	v_mov_b32_e32 v14, 0x60
	v_mad_u64_u32 v[6:7], s[2:3], s4, v14, v[6:7]
	s_mul_i32 s6, s5, 0x60
	v_add_u32_e32 v7, s6, v7
	global_store_dwordx2 v[6:7], v[8:9], off
	s_waitcnt lgkmcnt(0)
	v_mul_f32_e32 v8, v55, v1
	v_fmac_f32_e32 v8, v54, v0
	v_mul_f32_e32 v0, v55, v0
	v_fma_f32 v0, v54, v1, -v0
	v_cvt_f64_f32_e32 v[8:9], v8
	v_cvt_f64_f32_e32 v[0:1], v0
	v_mul_f64 v[8:9], v[8:9], s[0:1]
	v_mul_f64 v[0:1], v[0:1], s[0:1]
	v_cvt_f32_f64_e32 v8, v[8:9]
	v_cvt_f32_f64_e32 v9, v[0:1]
	ds_read_b64 v[0:1], v86 offset:288
	v_mad_u64_u32 v[6:7], s[2:3], s4, v14, v[6:7]
	v_add_u32_e32 v7, s6, v7
	global_store_dwordx2 v[6:7], v[8:9], off
	s_waitcnt lgkmcnt(0)
	v_mul_f32_e32 v8, v53, v1
	v_fmac_f32_e32 v8, v52, v0
	v_mul_f32_e32 v0, v53, v0
	v_fma_f32 v0, v52, v1, -v0
	v_cvt_f64_f32_e32 v[8:9], v8
	v_cvt_f64_f32_e32 v[0:1], v0
	v_mul_f64 v[8:9], v[8:9], s[0:1]
	v_mul_f64 v[0:1], v[0:1], s[0:1]
	v_cvt_f32_f64_e32 v8, v[8:9]
	v_cvt_f32_f64_e32 v9, v[0:1]
	v_mul_f32_e32 v0, v45, v3
	v_fmac_f32_e32 v0, v44, v2
	v_mad_u64_u32 v[6:7], s[2:3], s4, v14, v[6:7]
	v_cvt_f64_f32_e32 v[0:1], v0
	v_add_u32_e32 v7, s6, v7
	v_mul_f64 v[0:1], v[0:1], s[0:1]
	global_store_dwordx2 v[6:7], v[8:9], off
	v_cvt_f32_f64_e32 v8, v[0:1]
	v_mul_f32_e32 v0, v45, v2
	v_fma_f32 v0, v44, v3, -v0
	v_cvt_f64_f32_e32 v[0:1], v0
	v_mul_f64 v[0:1], v[0:1], s[0:1]
	v_cvt_f32_f64_e32 v9, v[0:1]
	v_mad_u64_u32 v[10:11], s[2:3], s4, v41, 0
	ds_read2_b64 v[0:3], v82 offset0:60 offset1:72
	v_mov_b32_e32 v12, v11
	v_mad_u64_u32 v[12:13], s[2:3], s5, v41, v[12:13]
	v_mov_b32_e32 v11, v12
	v_lshl_add_u64 v[4:5], v[10:11], 3, v[4:5]
	global_store_dwordx2 v[4:5], v[8:9], off
	s_waitcnt lgkmcnt(0)
	v_mul_f32_e32 v4, v47, v1
	v_fmac_f32_e32 v4, v46, v0
	v_mul_f32_e32 v0, v47, v0
	v_fma_f32 v0, v46, v1, -v0
	v_cvt_f64_f32_e32 v[4:5], v4
	v_cvt_f64_f32_e32 v[0:1], v0
	v_mul_f64 v[4:5], v[4:5], s[0:1]
	v_mul_f64 v[0:1], v[0:1], s[0:1]
	v_cvt_f32_f64_e32 v4, v[4:5]
	v_cvt_f32_f64_e32 v5, v[0:1]
	v_mov_b32_e32 v0, 0xc0
	v_mad_u64_u32 v[0:1], s[2:3], s4, v0, v[6:7]
	s_mul_i32 s2, s5, 0xc0
	s_nop 0
	v_add_u32_e32 v1, s2, v1
	global_store_dwordx2 v[0:1], v[4:5], off
	v_mul_f32_e32 v4, v43, v3
	v_fmac_f32_e32 v4, v42, v2
	v_mul_f32_e32 v2, v43, v2
	v_fma_f32 v2, v42, v3, -v2
	v_cvt_f64_f32_e32 v[4:5], v4
	v_cvt_f64_f32_e32 v[2:3], v2
	v_mul_f64 v[4:5], v[4:5], s[0:1]
	v_mul_f64 v[2:3], v[2:3], s[0:1]
	v_mad_u64_u32 v[0:1], s[0:1], s4, v14, v[0:1]
	v_cvt_f32_f64_e32 v4, v[4:5]
	v_cvt_f32_f64_e32 v5, v[2:3]
	v_add_u32_e32 v1, s6, v1
	global_store_dwordx2 v[0:1], v[4:5], off
.LBB0_18:
	s_endpgm
	.section	.rodata,"a",@progbits
	.p2align	6, 0x0
	.amdhsa_kernel bluestein_single_fwd_len84_dim1_sp_op_CI_CI
		.amdhsa_group_segment_fixed_size 6720
		.amdhsa_private_segment_fixed_size 0
		.amdhsa_kernarg_size 104
		.amdhsa_user_sgpr_count 2
		.amdhsa_user_sgpr_dispatch_ptr 0
		.amdhsa_user_sgpr_queue_ptr 0
		.amdhsa_user_sgpr_kernarg_segment_ptr 1
		.amdhsa_user_sgpr_dispatch_id 0
		.amdhsa_user_sgpr_kernarg_preload_length 0
		.amdhsa_user_sgpr_kernarg_preload_offset 0
		.amdhsa_user_sgpr_private_segment_size 0
		.amdhsa_uses_dynamic_stack 0
		.amdhsa_enable_private_segment 0
		.amdhsa_system_sgpr_workgroup_id_x 1
		.amdhsa_system_sgpr_workgroup_id_y 0
		.amdhsa_system_sgpr_workgroup_id_z 0
		.amdhsa_system_sgpr_workgroup_info 0
		.amdhsa_system_vgpr_workitem_id 0
		.amdhsa_next_free_vgpr 104
		.amdhsa_next_free_sgpr 24
		.amdhsa_accum_offset 104
		.amdhsa_reserve_vcc 1
		.amdhsa_float_round_mode_32 0
		.amdhsa_float_round_mode_16_64 0
		.amdhsa_float_denorm_mode_32 3
		.amdhsa_float_denorm_mode_16_64 3
		.amdhsa_dx10_clamp 1
		.amdhsa_ieee_mode 1
		.amdhsa_fp16_overflow 0
		.amdhsa_tg_split 0
		.amdhsa_exception_fp_ieee_invalid_op 0
		.amdhsa_exception_fp_denorm_src 0
		.amdhsa_exception_fp_ieee_div_zero 0
		.amdhsa_exception_fp_ieee_overflow 0
		.amdhsa_exception_fp_ieee_underflow 0
		.amdhsa_exception_fp_ieee_inexact 0
		.amdhsa_exception_int_div_zero 0
	.end_amdhsa_kernel
	.text
.Lfunc_end0:
	.size	bluestein_single_fwd_len84_dim1_sp_op_CI_CI, .Lfunc_end0-bluestein_single_fwd_len84_dim1_sp_op_CI_CI
                                        ; -- End function
	.section	.AMDGPU.csdata,"",@progbits
; Kernel info:
; codeLenInByte = 6068
; NumSgprs: 30
; NumVgprs: 104
; NumAgprs: 0
; TotalNumVgprs: 104
; ScratchSize: 0
; MemoryBound: 0
; FloatMode: 240
; IeeeMode: 1
; LDSByteSize: 6720 bytes/workgroup (compile time only)
; SGPRBlocks: 3
; VGPRBlocks: 12
; NumSGPRsForWavesPerEU: 30
; NumVGPRsForWavesPerEU: 104
; AccumOffset: 104
; Occupancy: 4
; WaveLimiterHint : 1
; COMPUTE_PGM_RSRC2:SCRATCH_EN: 0
; COMPUTE_PGM_RSRC2:USER_SGPR: 2
; COMPUTE_PGM_RSRC2:TRAP_HANDLER: 0
; COMPUTE_PGM_RSRC2:TGID_X_EN: 1
; COMPUTE_PGM_RSRC2:TGID_Y_EN: 0
; COMPUTE_PGM_RSRC2:TGID_Z_EN: 0
; COMPUTE_PGM_RSRC2:TIDIG_COMP_CNT: 0
; COMPUTE_PGM_RSRC3_GFX90A:ACCUM_OFFSET: 25
; COMPUTE_PGM_RSRC3_GFX90A:TG_SPLIT: 0
	.text
	.p2alignl 6, 3212836864
	.fill 256, 4, 3212836864
	.type	__hip_cuid_b1f901e4ae864dd9,@object ; @__hip_cuid_b1f901e4ae864dd9
	.section	.bss,"aw",@nobits
	.globl	__hip_cuid_b1f901e4ae864dd9
__hip_cuid_b1f901e4ae864dd9:
	.byte	0                               ; 0x0
	.size	__hip_cuid_b1f901e4ae864dd9, 1

	.ident	"AMD clang version 19.0.0git (https://github.com/RadeonOpenCompute/llvm-project roc-6.4.0 25133 c7fe45cf4b819c5991fe208aaa96edf142730f1d)"
	.section	".note.GNU-stack","",@progbits
	.addrsig
	.addrsig_sym __hip_cuid_b1f901e4ae864dd9
	.amdgpu_metadata
---
amdhsa.kernels:
  - .agpr_count:     0
    .args:
      - .actual_access:  read_only
        .address_space:  global
        .offset:         0
        .size:           8
        .value_kind:     global_buffer
      - .actual_access:  read_only
        .address_space:  global
        .offset:         8
        .size:           8
        .value_kind:     global_buffer
      - .actual_access:  read_only
        .address_space:  global
        .offset:         16
        .size:           8
        .value_kind:     global_buffer
      - .actual_access:  read_only
        .address_space:  global
        .offset:         24
        .size:           8
        .value_kind:     global_buffer
      - .actual_access:  read_only
        .address_space:  global
        .offset:         32
        .size:           8
        .value_kind:     global_buffer
      - .offset:         40
        .size:           8
        .value_kind:     by_value
      - .address_space:  global
        .offset:         48
        .size:           8
        .value_kind:     global_buffer
      - .address_space:  global
        .offset:         56
        .size:           8
        .value_kind:     global_buffer
      - .address_space:  global
        .offset:         64
        .size:           8
        .value_kind:     global_buffer
      - .address_space:  global
        .offset:         72
        .size:           8
        .value_kind:     global_buffer
      - .offset:         80
        .size:           4
        .value_kind:     by_value
      - .address_space:  global
        .offset:         88
        .size:           8
        .value_kind:     global_buffer
      - .address_space:  global
        .offset:         96
        .size:           8
        .value_kind:     global_buffer
    .group_segment_fixed_size: 6720
    .kernarg_segment_align: 8
    .kernarg_segment_size: 104
    .language:       OpenCL C
    .language_version:
      - 2
      - 0
    .max_flat_workgroup_size: 120
    .name:           bluestein_single_fwd_len84_dim1_sp_op_CI_CI
    .private_segment_fixed_size: 0
    .sgpr_count:     30
    .sgpr_spill_count: 0
    .symbol:         bluestein_single_fwd_len84_dim1_sp_op_CI_CI.kd
    .uniform_work_group_size: 1
    .uses_dynamic_stack: false
    .vgpr_count:     104
    .vgpr_spill_count: 0
    .wavefront_size: 64
amdhsa.target:   amdgcn-amd-amdhsa--gfx950
amdhsa.version:
  - 1
  - 2
...

	.end_amdgpu_metadata
